;; amdgpu-corpus repo=zjin-lcf/HeCBench kind=compiled arch=gfx950 opt=O3
	.amdgcn_target "amdgcn-amd-amdhsa--gfx950"
	.amdhsa_code_object_version 6
	.text
	.protected	_Z11bucketcountPKfPiPjS0_i ; -- Begin function _Z11bucketcountPKfPiPjS0_i
	.globl	_Z11bucketcountPKfPiPjS0_i
	.p2align	8
	.type	_Z11bucketcountPKfPiPjS0_i,@function
_Z11bucketcountPKfPiPjS0_i:             ; @_Z11bucketcountPKfPiPjS0_i
; %bb.0:
	s_load_dword s4, s[0:1], 0x34
	s_load_dword s3, s[0:1], 0x28
	v_sub_u32_e32 v1, 0x400, v0
	s_mov_b64 s[6:7], -1
	v_mov_b32_e32 v2, v0
	s_waitcnt lgkmcnt(0)
	s_and_b32 s20, s4, 0xffff
	s_movk_i32 s4, 0x3ff
	s_cmp_eq_u32 s20, 1
	v_cmp_ne_u32_e32 vcc, s4, v0
	s_cselect_b64 s[4:5], -1, 0
	s_and_b64 s[12:13], vcc, s[4:5]
	s_and_saveexec_b64 s[4:5], s[12:13]
	s_cbranch_execz .LBB0_9
; %bb.1:
	v_sub_u32_e32 v3, 0x3fe, v0
	v_lshrrev_b32_e32 v2, 1, v3
	v_add_u32_e32 v2, 1, v2
	v_cmp_lt_u32_e32 vcc, 13, v3
	v_mov_b32_e32 v6, 0
	s_and_saveexec_b64 s[6:7], vcc
	s_cbranch_execz .LBB0_5
; %bb.2:
	v_and_b32_e32 v3, -8, v2
	v_lshlrev_b32_e32 v4, 2, v0
	s_mov_b32 s10, 0
	s_mov_b64 s[8:9], 0
	v_mov_b32_e32 v5, 0
.LBB0_3:                                ; =>This Inner Loop Header: Depth=1
	v_add_u32_e32 v3, -8, v3
	s_add_i32 s10, s10, 16
	v_cmp_eq_u32_e32 vcc, 0, v3
	ds_write2_b32 v4, v5, v5 offset1:1
	ds_write2_b32 v4, v5, v5 offset0:2 offset1:3
	ds_write2_b32 v4, v5, v5 offset0:4 offset1:5
	;; [unrolled: 1-line block ×7, first 2 shown]
	v_add_u32_e32 v4, 64, v4
	s_or_b64 s[8:9], vcc, s[8:9]
	v_mov_b32_e32 v6, s10
	s_andn2_b64 exec, exec, s[8:9]
	s_cbranch_execnz .LBB0_3
; %bb.4:
	s_or_b64 exec, exec, s[8:9]
.LBB0_5:
	s_or_b64 exec, exec, s[6:7]
	v_and_b32_e32 v3, 7, v2
	v_cmp_ne_u32_e32 vcc, 0, v3
	s_and_saveexec_b64 s[6:7], vcc
	s_cbranch_execz .LBB0_8
; %bb.6:
	v_lshlrev_b32_e32 v2, 2, v6
	v_lshl_add_u32 v2, v0, 2, v2
	v_lshlrev_b32_e32 v3, 3, v3
	s_mov_b64 s[8:9], 0
	v_mov_b32_e32 v4, 0
.LBB0_7:                                ; =>This Inner Loop Header: Depth=1
	v_add_u32_e32 v3, -8, v3
	v_cmp_eq_u32_e32 vcc, 0, v3
	ds_write2_b32 v2, v4, v4 offset1:1
	s_or_b64 s[8:9], vcc, s[8:9]
	v_add_u32_e32 v2, 8, v2
	s_andn2_b64 exec, exec, s[8:9]
	s_cbranch_execnz .LBB0_7
.LBB0_8:
	s_or_b64 exec, exec, s[6:7]
	v_and_b32_e32 v3, 0x7fe, v1
	v_cmp_ne_u32_e32 vcc, v1, v3
	v_add_u32_e32 v2, v0, v3
	s_orn2_b64 s[6:7], vcc, exec
.LBB0_9:
	s_or_b64 exec, exec, s[4:5]
	s_and_saveexec_b64 s[4:5], s[6:7]
	s_cbranch_execz .LBB0_12
; %bb.10:
	v_lshlrev_b32_e32 v3, 2, v2
	s_lshl_b32 s8, s20, 2
	s_mov_b64 s[6:7], 0
	v_mov_b32_e32 v4, 0
	s_movk_i32 s9, 0x3ff
.LBB0_11:                               ; =>This Inner Loop Header: Depth=1
	v_add_u32_e32 v2, s20, v2
	v_cmp_lt_u32_e32 vcc, s9, v2
	ds_write_b32 v3, v4
	s_or_b64 s[6:7], vcc, s[6:7]
	v_add_u32_e32 v3, s8, v3
	s_andn2_b64 exec, exec, s[6:7]
	s_cbranch_execnz .LBB0_11
.LBB0_12:
	s_or_b64 exec, exec, s[4:5]
	s_load_dwordx8 s[4:11], s[0:1], 0x0
	s_load_dword s21, s[0:1], 0x20
	s_mul_i32 s0, s2, s20
	v_add_u32_e32 v2, s0, v0
	s_waitcnt lgkmcnt(0)
	s_barrier
	v_cmp_gt_i32_e32 vcc, s21, v2
	s_and_saveexec_b64 s[0:1], vcc
	s_cbranch_execz .LBB0_15
; %bb.13:
	s_mul_i32 s14, s3, s20
	s_load_dword s3, s[10:11], 0x7fc
	v_lshlrev_b32_e32 v3, 7, v0
	v_and_b32_e32 v8, 0x1f000, v3
	v_ashrrev_i32_e32 v3, 31, v2
	s_ashr_i32 s15, s14, 31
	v_lshlrev_b64 v[4:5], 2, v[2:3]
	s_lshl_b64 s[16:17], s[14:15], 2
	s_mov_b64 s[18:19], 0
	v_mov_b32_e32 v3, 0x2ff
	v_mov_b32_e32 v9, 0xff
	;; [unrolled: 1-line block ×5, first 2 shown]
	v_not_b32_e32 v12, 63
	v_not_b32_e32 v13, 31
	v_mov_b32_e32 v14, 1
.LBB0_14:                               ; =>This Inner Loop Header: Depth=1
	v_lshl_add_u64 v[16:17], s[4:5], 0, v[4:5]
	global_load_dword v15, v[16:17], off
	v_add_u32_e32 v2, s14, v2
	s_waitcnt vmcnt(0) lgkmcnt(0)
	v_cmp_gt_f32_e32 vcc, s3, v15
	s_nop 1
	v_cndmask_b32_e32 v6, v3, v9, vcc
	v_lshlrev_b32_e32 v16, 2, v6
	global_load_dword v16, v16, s[10:11]
	s_waitcnt vmcnt(0)
	v_cmp_lt_f32_e32 vcc, v15, v16
	s_nop 1
	v_cndmask_b32_e32 v16, v10, v11, vcc
	v_add_u32_e32 v6, v16, v6
	v_lshl_add_u64 v[16:17], v[6:7], 2, s[10:11]
	global_load_dword v16, v[16:17], off
	s_waitcnt vmcnt(0)
	v_cmp_lt_f32_e32 vcc, v15, v16
	s_nop 1
	v_cndmask_b32_e32 v16, 64, v12, vcc
	v_add_u32_e32 v6, v16, v6
	v_lshl_add_u64 v[16:17], v[6:7], 2, s[10:11]
	global_load_dword v16, v[16:17], off
	;; [unrolled: 7-line block ×3, first 2 shown]
	s_waitcnt vmcnt(0)
	v_cmp_lt_f32_e32 vcc, v15, v16
	s_nop 1
	v_cndmask_b32_e64 v16, 16, -16, vcc
	v_add_u32_e32 v6, v16, v6
	v_lshl_add_u64 v[16:17], v[6:7], 2, s[10:11]
	global_load_dword v16, v[16:17], off
	s_waitcnt vmcnt(0)
	v_cmp_lt_f32_e32 vcc, v15, v16
	s_nop 1
	v_cndmask_b32_e64 v16, 8, -8, vcc
	v_add_u32_e32 v6, v16, v6
	v_lshl_add_u64 v[16:17], v[6:7], 2, s[10:11]
	global_load_dword v16, v[16:17], off
	;; [unrolled: 7-line block ×4, first 2 shown]
	v_mov_b32_e32 v17, v7
	s_waitcnt vmcnt(0)
	v_cmp_lt_f32_e32 vcc, v15, v16
	s_nop 1
	v_cndmask_b32_e64 v18, 1, -1, vcc
	v_add_u32_e32 v16, v18, v6
	v_lshl_add_u64 v[16:17], v[16:17], 2, s[10:11]
	global_load_dword v19, v[16:17], off
	v_lshl_add_u64 v[16:17], s[6:7], 0, v[4:5]
	v_lshl_add_u64 v[4:5], v[4:5], 0, s[16:17]
	s_waitcnt vmcnt(0)
	v_cmp_nlt_f32_e32 vcc, v15, v19
	s_nop 1
	v_addc_co_u32_e32 v6, vcc, v18, v6, vcc
	v_lshl_add_u32 v15, v6, 2, v8
	ds_add_rtn_u32 v15, v15, v14
	v_cmp_le_i32_e32 vcc, s21, v2
	s_or_b64 s[18:19], vcc, s[18:19]
	s_waitcnt lgkmcnt(0)
	v_lshl_add_u32 v6, v15, 10, v6
	global_store_dword v[16:17], v6, off
	s_andn2_b64 exec, exec, s[18:19]
	s_cbranch_execnz .LBB0_14
.LBB0_15:
	s_or_b64 exec, exec, s[0:1]
	s_lshl_b32 s0, s2, 10
	s_mov_b64 s[4:5], -1
	s_barrier
	s_and_saveexec_b64 s[2:3], s[12:13]
	s_cbranch_execz .LBB0_24
; %bb.16:
	v_sub_u32_e32 v3, 0x3fe, v0
	v_lshrrev_b32_e32 v2, 1, v3
	v_add_u32_e32 v2, 1, v2
	v_cmp_lt_u32_e32 vcc, 13, v3
	v_mov_b32_e32 v6, 0
	s_and_saveexec_b64 s[4:5], vcc
	s_cbranch_execz .LBB0_20
; %bb.17:
	v_and_b32_e32 v3, -8, v2
	v_add_u32_e32 v4, s0, v0
	v_lshlrev_b32_e32 v5, 2, v0
	s_mov_b32 s1, 0
	s_mov_b64 s[6:7], 0
.LBB0_18:                               ; =>This Inner Loop Header: Depth=1
	ds_read2_b32 v[10:11], v5 offset1:1
	ds_read2_b32 v[12:13], v5 offset0:2 offset1:3
	ds_read2_b32 v[14:15], v5 offset0:4 offset1:5
	;; [unrolled: 1-line block ×7, first 2 shown]
	v_add_u32_e32 v8, s1, v4
	v_add_u32_e32 v3, -8, v3
	s_add_i32 s1, s1, 16
	v_ashrrev_i32_e32 v9, 31, v8
	v_add_u32_e32 v26, 2, v8
	v_add_u32_e32 v28, 4, v8
	v_add_u32_e32 v30, 6, v8
	v_add_u32_e32 v32, 8, v8
	v_add_u32_e32 v34, 10, v8
	v_add_u32_e32 v36, 12, v8
	v_add_u32_e32 v38, 14, v8
	v_cmp_eq_u32_e32 vcc, 0, v3
	v_add_u32_e32 v5, 64, v5
	v_mov_b32_e32 v6, s1
	v_lshl_add_u64 v[8:9], v[8:9], 2, s[8:9]
	v_ashrrev_i32_e32 v27, 31, v26
	v_ashrrev_i32_e32 v29, 31, v28
	;; [unrolled: 1-line block ×7, first 2 shown]
	s_or_b64 s[6:7], vcc, s[6:7]
	s_waitcnt lgkmcnt(7)
	v_and_b32_e32 v11, 0x7ffffff, v11
	v_and_b32_e32 v10, 0x7ffffff, v10
	v_lshl_add_u64 v[26:27], v[26:27], 2, s[8:9]
	v_lshl_add_u64 v[28:29], v[28:29], 2, s[8:9]
	;; [unrolled: 1-line block ×7, first 2 shown]
	s_waitcnt lgkmcnt(6)
	v_and_b32_e32 v13, 0x7ffffff, v13
	v_and_b32_e32 v12, 0x7ffffff, v12
	s_waitcnt lgkmcnt(5)
	v_and_b32_e32 v15, 0x7ffffff, v15
	v_and_b32_e32 v14, 0x7ffffff, v14
	;; [unrolled: 3-line block ×7, first 2 shown]
	global_store_dwordx2 v[8:9], v[10:11], off
	global_store_dwordx2 v[26:27], v[12:13], off
	;; [unrolled: 1-line block ×8, first 2 shown]
	s_andn2_b64 exec, exec, s[6:7]
	s_cbranch_execnz .LBB0_18
; %bb.19:
	s_or_b64 exec, exec, s[6:7]
.LBB0_20:
	s_or_b64 exec, exec, s[4:5]
	v_and_b32_e32 v3, 7, v2
	v_cmp_ne_u32_e32 vcc, 0, v3
	s_and_saveexec_b64 s[4:5], vcc
	s_cbranch_execz .LBB0_23
; %bb.21:
	v_add_u32_e32 v4, v0, v6
	v_add_u32_e32 v2, s0, v4
	v_lshlrev_b32_e32 v4, 2, v4
	v_lshlrev_b32_e32 v5, 2, v3
	s_mov_b64 s[6:7], 0
.LBB0_22:                               ; =>This Inner Loop Header: Depth=1
	ds_read2_b32 v[6:7], v4 offset1:1
	v_add_u32_e32 v5, -4, v5
	v_ashrrev_i32_e32 v3, 31, v2
	v_cmp_eq_u32_e32 vcc, 0, v5
	v_add_u32_e32 v4, 8, v4
	v_lshl_add_u64 v[8:9], v[2:3], 2, s[8:9]
	v_add_u32_e32 v2, 2, v2
	s_or_b64 s[6:7], vcc, s[6:7]
	s_waitcnt lgkmcnt(0)
	v_and_b32_e32 v7, 0x7ffffff, v7
	v_and_b32_e32 v6, 0x7ffffff, v6
	global_store_dwordx2 v[8:9], v[6:7], off
	s_andn2_b64 exec, exec, s[6:7]
	s_cbranch_execnz .LBB0_22
.LBB0_23:
	s_or_b64 exec, exec, s[4:5]
	v_and_b32_e32 v2, 0x7fe, v1
	v_cmp_ne_u32_e32 vcc, v1, v2
	v_add_u32_e32 v0, v0, v2
	s_orn2_b64 s[4:5], vcc, exec
.LBB0_24:
	s_or_b64 exec, exec, s[2:3]
	s_and_saveexec_b64 s[2:3], s[4:5]
	s_cbranch_execz .LBB0_27
; %bb.25:
	s_ashr_i32 s1, s0, 31
	v_mov_b32_e32 v1, 0
	v_lshl_add_u64 v[2:3], s[0:1], 0, v[0:1]
	v_lshlrev_b32_e32 v4, 2, v0
	s_lshl_b32 s2, s20, 2
	s_mov_b32 s3, 0
	v_lshl_add_u64 v[2:3], v[2:3], 2, s[8:9]
	s_mov_b64 s[0:1], 0
	s_movk_i32 s4, 0x3ff
.LBB0_26:                               ; =>This Inner Loop Header: Depth=1
	ds_read_b32 v1, v4
	v_add_u32_e32 v0, s20, v0
	v_cmp_lt_u32_e32 vcc, s4, v0
	v_add_u32_e32 v4, s2, v4
	s_or_b64 s[0:1], vcc, s[0:1]
	s_waitcnt lgkmcnt(0)
	v_and_b32_e32 v1, 0x7ffffff, v1
	global_store_dword v[2:3], v1, off
	v_lshl_add_u64 v[2:3], v[2:3], 0, s[2:3]
	s_andn2_b64 exec, exec, s[0:1]
	s_cbranch_execnz .LBB0_26
.LBB0_27:
	s_endpgm
	.section	.rodata,"a",@progbits
	.p2align	6, 0x0
	.amdhsa_kernel _Z11bucketcountPKfPiPjS0_i
		.amdhsa_group_segment_fixed_size 4096
		.amdhsa_private_segment_fixed_size 0
		.amdhsa_kernarg_size 296
		.amdhsa_user_sgpr_count 2
		.amdhsa_user_sgpr_dispatch_ptr 0
		.amdhsa_user_sgpr_queue_ptr 0
		.amdhsa_user_sgpr_kernarg_segment_ptr 1
		.amdhsa_user_sgpr_dispatch_id 0
		.amdhsa_user_sgpr_kernarg_preload_length 0
		.amdhsa_user_sgpr_kernarg_preload_offset 0
		.amdhsa_user_sgpr_private_segment_size 0
		.amdhsa_uses_dynamic_stack 0
		.amdhsa_enable_private_segment 0
		.amdhsa_system_sgpr_workgroup_id_x 1
		.amdhsa_system_sgpr_workgroup_id_y 0
		.amdhsa_system_sgpr_workgroup_id_z 0
		.amdhsa_system_sgpr_workgroup_info 0
		.amdhsa_system_vgpr_workitem_id 0
		.amdhsa_next_free_vgpr 40
		.amdhsa_next_free_sgpr 22
		.amdhsa_accum_offset 40
		.amdhsa_reserve_vcc 1
		.amdhsa_float_round_mode_32 0
		.amdhsa_float_round_mode_16_64 0
		.amdhsa_float_denorm_mode_32 3
		.amdhsa_float_denorm_mode_16_64 3
		.amdhsa_dx10_clamp 1
		.amdhsa_ieee_mode 1
		.amdhsa_fp16_overflow 0
		.amdhsa_tg_split 0
		.amdhsa_exception_fp_ieee_invalid_op 0
		.amdhsa_exception_fp_denorm_src 0
		.amdhsa_exception_fp_ieee_div_zero 0
		.amdhsa_exception_fp_ieee_overflow 0
		.amdhsa_exception_fp_ieee_underflow 0
		.amdhsa_exception_fp_ieee_inexact 0
		.amdhsa_exception_int_div_zero 0
	.end_amdhsa_kernel
	.text
.Lfunc_end0:
	.size	_Z11bucketcountPKfPiPjS0_i, .Lfunc_end0-_Z11bucketcountPKfPiPjS0_i
                                        ; -- End function
	.set _Z11bucketcountPKfPiPjS0_i.num_vgpr, 40
	.set _Z11bucketcountPKfPiPjS0_i.num_agpr, 0
	.set _Z11bucketcountPKfPiPjS0_i.numbered_sgpr, 22
	.set _Z11bucketcountPKfPiPjS0_i.num_named_barrier, 0
	.set _Z11bucketcountPKfPiPjS0_i.private_seg_size, 0
	.set _Z11bucketcountPKfPiPjS0_i.uses_vcc, 1
	.set _Z11bucketcountPKfPiPjS0_i.uses_flat_scratch, 0
	.set _Z11bucketcountPKfPiPjS0_i.has_dyn_sized_stack, 0
	.set _Z11bucketcountPKfPiPjS0_i.has_recursion, 0
	.set _Z11bucketcountPKfPiPjS0_i.has_indirect_call, 0
	.section	.AMDGPU.csdata,"",@progbits
; Kernel info:
; codeLenInByte = 1764
; TotalNumSgprs: 28
; NumVgprs: 40
; NumAgprs: 0
; TotalNumVgprs: 40
; ScratchSize: 0
; MemoryBound: 0
; FloatMode: 240
; IeeeMode: 1
; LDSByteSize: 4096 bytes/workgroup (compile time only)
; SGPRBlocks: 3
; VGPRBlocks: 4
; NumSGPRsForWavesPerEU: 28
; NumVGPRsForWavesPerEU: 40
; AccumOffset: 40
; Occupancy: 8
; WaveLimiterHint : 0
; COMPUTE_PGM_RSRC2:SCRATCH_EN: 0
; COMPUTE_PGM_RSRC2:USER_SGPR: 2
; COMPUTE_PGM_RSRC2:TRAP_HANDLER: 0
; COMPUTE_PGM_RSRC2:TGID_X_EN: 1
; COMPUTE_PGM_RSRC2:TGID_Y_EN: 0
; COMPUTE_PGM_RSRC2:TGID_Z_EN: 0
; COMPUTE_PGM_RSRC2:TIDIG_COMP_CNT: 0
; COMPUTE_PGM_RSRC3_GFX90A:ACCUM_OFFSET: 9
; COMPUTE_PGM_RSRC3_GFX90A:TG_SPLIT: 0
	.text
	.protected	_Z12bucketprefixPjS_i   ; -- Begin function _Z12bucketprefixPjS_i
	.globl	_Z12bucketprefixPjS_i
	.p2align	8
	.type	_Z12bucketprefixPjS_i,@function
_Z12bucketprefixPjS_i:                  ; @_Z12bucketprefixPjS_i
; %bb.0:
	s_load_dword s3, s[0:1], 0x24
	s_load_dword s4, s[0:1], 0x10
	s_waitcnt lgkmcnt(0)
	s_and_b32 s3, s3, 0xffff
	s_mul_i32 s2, s2, s3
	s_lshl_b32 s8, s4, 10
	v_add_u32_e32 v2, s2, v0
	v_cmp_le_i32_e32 vcc, s8, v2
	v_ashrrev_i32_e32 v3, 31, v2
                                        ; implicit-def: $vgpr0_vgpr1
	s_and_saveexec_b64 s[2:3], vcc
	s_xor_b64 s[2:3], exec, s[2:3]
; %bb.1:
	v_mov_b64_e32 v[0:1], v[2:3]
                                        ; implicit-def: $vgpr2
; %bb.2:
	s_or_saveexec_b64 s[4:5], s[2:3]
	s_load_dwordx4 s[0:3], s[0:1], 0x0
	v_mov_b32_e32 v6, 0
	s_xor_b64 exec, exec, s[4:5]
	s_cbranch_execz .LBB1_6
; %bb.3:
	s_waitcnt lgkmcnt(0)
	v_mov_b32_e32 v4, s0
	v_mov_b32_e32 v5, s1
	v_mov_b64_e32 v[0:1], v[2:3]
	v_lshl_add_u64 v[4:5], v[2:3], 2, v[4:5]
	v_mov_b32_e32 v6, 0
	s_mov_b64 s[0:1], 0
	s_mov_b64 s[6:7], 0x1000
.LBB1_4:                                ; =>This Inner Loop Header: Depth=1
	global_load_dword v3, v[4:5], off
	v_add_u32_e32 v2, 0x400, v2
	v_cmp_le_i32_e32 vcc, s8, v2
	global_store_dword v[4:5], v6, off
	v_lshl_add_u64 v[4:5], v[4:5], 0, s[6:7]
	s_or_b64 s[0:1], vcc, s[0:1]
	s_waitcnt vmcnt(1)
	v_add_u32_e32 v6, v3, v6
	s_andn2_b64 exec, exec, s[0:1]
	s_cbranch_execnz .LBB1_4
; %bb.5:
	s_or_b64 exec, exec, s[0:1]
.LBB1_6:
	s_or_b64 exec, exec, s[4:5]
	s_waitcnt lgkmcnt(0)
	v_mov_b32_e32 v2, s2
	v_mov_b32_e32 v3, s3
	v_lshl_add_u64 v[0:1], v[0:1], 2, v[2:3]
	global_store_dword v[0:1], v6, off
	s_endpgm
	.section	.rodata,"a",@progbits
	.p2align	6, 0x0
	.amdhsa_kernel _Z12bucketprefixPjS_i
		.amdhsa_group_segment_fixed_size 0
		.amdhsa_private_segment_fixed_size 0
		.amdhsa_kernarg_size 280
		.amdhsa_user_sgpr_count 2
		.amdhsa_user_sgpr_dispatch_ptr 0
		.amdhsa_user_sgpr_queue_ptr 0
		.amdhsa_user_sgpr_kernarg_segment_ptr 1
		.amdhsa_user_sgpr_dispatch_id 0
		.amdhsa_user_sgpr_kernarg_preload_length 0
		.amdhsa_user_sgpr_kernarg_preload_offset 0
		.amdhsa_user_sgpr_private_segment_size 0
		.amdhsa_uses_dynamic_stack 0
		.amdhsa_enable_private_segment 0
		.amdhsa_system_sgpr_workgroup_id_x 1
		.amdhsa_system_sgpr_workgroup_id_y 0
		.amdhsa_system_sgpr_workgroup_id_z 0
		.amdhsa_system_sgpr_workgroup_info 0
		.amdhsa_system_vgpr_workitem_id 0
		.amdhsa_next_free_vgpr 7
		.amdhsa_next_free_sgpr 9
		.amdhsa_accum_offset 8
		.amdhsa_reserve_vcc 1
		.amdhsa_float_round_mode_32 0
		.amdhsa_float_round_mode_16_64 0
		.amdhsa_float_denorm_mode_32 3
		.amdhsa_float_denorm_mode_16_64 3
		.amdhsa_dx10_clamp 1
		.amdhsa_ieee_mode 1
		.amdhsa_fp16_overflow 0
		.amdhsa_tg_split 0
		.amdhsa_exception_fp_ieee_invalid_op 0
		.amdhsa_exception_fp_denorm_src 0
		.amdhsa_exception_fp_ieee_div_zero 0
		.amdhsa_exception_fp_ieee_overflow 0
		.amdhsa_exception_fp_ieee_underflow 0
		.amdhsa_exception_fp_ieee_inexact 0
		.amdhsa_exception_int_div_zero 0
	.end_amdhsa_kernel
	.text
.Lfunc_end1:
	.size	_Z12bucketprefixPjS_i, .Lfunc_end1-_Z12bucketprefixPjS_i
                                        ; -- End function
	.set _Z12bucketprefixPjS_i.num_vgpr, 7
	.set _Z12bucketprefixPjS_i.num_agpr, 0
	.set _Z12bucketprefixPjS_i.numbered_sgpr, 9
	.set _Z12bucketprefixPjS_i.num_named_barrier, 0
	.set _Z12bucketprefixPjS_i.private_seg_size, 0
	.set _Z12bucketprefixPjS_i.uses_vcc, 1
	.set _Z12bucketprefixPjS_i.uses_flat_scratch, 0
	.set _Z12bucketprefixPjS_i.has_dyn_sized_stack, 0
	.set _Z12bucketprefixPjS_i.has_recursion, 0
	.set _Z12bucketprefixPjS_i.has_indirect_call, 0
	.section	.AMDGPU.csdata,"",@progbits
; Kernel info:
; codeLenInByte = 220
; TotalNumSgprs: 15
; NumVgprs: 7
; NumAgprs: 0
; TotalNumVgprs: 7
; ScratchSize: 0
; MemoryBound: 0
; FloatMode: 240
; IeeeMode: 1
; LDSByteSize: 0 bytes/workgroup (compile time only)
; SGPRBlocks: 1
; VGPRBlocks: 0
; NumSGPRsForWavesPerEU: 15
; NumVGPRsForWavesPerEU: 7
; AccumOffset: 8
; Occupancy: 8
; WaveLimiterHint : 0
; COMPUTE_PGM_RSRC2:SCRATCH_EN: 0
; COMPUTE_PGM_RSRC2:USER_SGPR: 2
; COMPUTE_PGM_RSRC2:TRAP_HANDLER: 0
; COMPUTE_PGM_RSRC2:TGID_X_EN: 1
; COMPUTE_PGM_RSRC2:TGID_Y_EN: 0
; COMPUTE_PGM_RSRC2:TGID_Z_EN: 0
; COMPUTE_PGM_RSRC2:TIDIG_COMP_CNT: 0
; COMPUTE_PGM_RSRC3_GFX90A:ACCUM_OFFSET: 1
; COMPUTE_PGM_RSRC3_GFX90A:TG_SPLIT: 0
	.text
	.protected	_Z10bucketsortPKfPKiPfPKjS5_i ; -- Begin function _Z10bucketsortPKfPKiPfPKjS5_i
	.globl	_Z10bucketsortPKfPKiPfPKjS5_i
	.p2align	8
	.type	_Z10bucketsortPKfPKiPfPKjS5_i,@function
_Z10bucketsortPKfPKiPfPKjS5_i:          ; @_Z10bucketsortPKfPKiPfPKjS5_i
; %bb.0:
	s_load_dword s14, s[0:1], 0x3c
	s_load_dwordx2 s[12:13], s[0:1], 0x20
	s_load_dword s3, s[0:1], 0x30
	s_load_dwordx8 s[4:11], s[0:1], 0x0
	s_movk_i32 s15, 0x3ff
	s_waitcnt lgkmcnt(0)
	s_and_b32 s22, s14, 0xffff
	s_lshl_b32 s14, s2, 10
	s_cmp_eq_u32 s22, 1
	v_cmp_ne_u32_e32 vcc, s15, v0
	s_cselect_b64 s[16:17], -1, 0
	s_and_b64 s[20:21], vcc, s[16:17]
	s_mov_b64 s[18:19], -1
	v_mov_b32_e32 v1, v0
	s_and_saveexec_b64 s[16:17], s[20:21]
	s_cbranch_execz .LBB2_9
; %bb.1:
	v_sub_u32_e32 v2, 0x3fe, v0
	v_lshrrev_b32_e32 v1, 1, v2
	v_add_u32_e32 v1, 1, v1
	v_cmp_lt_u32_e32 vcc, 13, v2
	v_mov_b32_e32 v2, 0
	s_and_saveexec_b64 s[18:19], vcc
	s_cbranch_execz .LBB2_5
; %bb.2:
	v_and_b32_e32 v4, -8, v1
	v_add_u32_e32 v5, s14, v0
	v_lshlrev_b32_e32 v6, 2, v0
	s_mov_b32 s15, 0
	s_mov_b64 s[20:21], 0
	v_mov_b32_e32 v3, 0
.LBB2_3:                                ; =>This Inner Loop Header: Depth=1
	v_add_u32_e32 v2, s15, v0
	v_add_u32_e32 v8, s15, v5
	v_lshl_add_u64 v[22:23], v[2:3], 2, s[12:13]
	v_ashrrev_i32_e32 v9, 31, v8
	v_add_u32_e32 v24, 2, v8
	v_mov_b32_e32 v11, v3
	v_mov_b32_e32 v13, v3
	;; [unrolled: 1-line block ×6, first 2 shown]
	v_add_u32_e32 v10, 2, v2
	v_add_u32_e32 v12, 4, v2
	;; [unrolled: 1-line block ×13, first 2 shown]
	global_load_dwordx2 v[22:23], v[22:23], off
	v_lshl_add_u64 v[8:9], v[8:9], 2, s[10:11]
	v_ashrrev_i32_e32 v25, 31, v24
	v_lshl_add_u64 v[10:11], v[10:11], 2, s[12:13]
	v_lshl_add_u64 v[12:13], v[12:13], 2, s[12:13]
	v_ashrrev_i32_e32 v27, 31, v26
	v_lshl_add_u64 v[14:15], v[14:15], 2, s[12:13]
	v_ashrrev_i32_e32 v29, 31, v28
	;; [unrolled: 2-line block ×6, first 2 shown]
	global_load_dwordx2 v[40:41], v[8:9], off
	global_load_dwordx2 v[42:43], v[10:11], off
	v_lshl_add_u64 v[8:9], v[24:25], 2, s[10:11]
	global_load_dwordx2 v[10:11], v[12:13], off
	v_lshl_add_u64 v[24:25], v[28:29], 2, s[10:11]
	;; [unrolled: 2-line block ×3, first 2 shown]
	global_load_dwordx2 v[16:17], v[16:17], off
	v_add_u32_e32 v4, -8, v4
	global_load_dwordx2 v[18:19], v[18:19], off
	v_lshl_add_u64 v[12:13], v[26:27], 2, s[10:11]
	v_lshl_add_u64 v[26:27], v[30:31], 2, s[10:11]
	global_load_dwordx2 v[20:21], v[20:21], off
	v_lshl_add_u64 v[30:31], v[34:35], 2, s[10:11]
	global_load_dwordx2 v[32:33], v[38:39], off
	;; [unrolled: 2-line block ×3, first 2 shown]
	global_load_dwordx2 v[38:39], v[12:13], off
	global_load_dwordx2 v[44:45], v[24:25], off
	;; [unrolled: 1-line block ×6, first 2 shown]
	s_add_i32 s15, s15, 16
	v_cmp_eq_u32_e32 vcc, 0, v4
	v_mov_b32_e32 v2, s15
	s_or_b64 s[20:21], vcc, s[20:21]
	s_waitcnt vmcnt(14)
	v_add_u32_e32 v7, v41, v23
	v_add_u32_e32 v8, v40, v22
	ds_write2_b32 v6, v8, v7 offset1:1
	s_waitcnt vmcnt(6)
	v_add_u32_e32 v7, v37, v43
	v_add_u32_e32 v8, v36, v42
	s_waitcnt vmcnt(5)
	v_add_u32_e32 v9, v39, v11
	v_add_u32_e32 v10, v38, v10
	s_waitcnt vmcnt(4)
	v_add_u32_e32 v11, v45, v15
	v_add_u32_e32 v12, v44, v14
	s_waitcnt vmcnt(3)
	v_add_u32_e32 v13, v47, v17
	v_add_u32_e32 v14, v46, v16
	s_waitcnt vmcnt(2)
	v_add_u32_e32 v15, v49, v19
	v_add_u32_e32 v16, v48, v18
	s_waitcnt vmcnt(1)
	v_add_u32_e32 v17, v51, v21
	v_add_u32_e32 v18, v50, v20
	s_waitcnt vmcnt(0)
	v_add_u32_e32 v19, v53, v33
	v_add_u32_e32 v20, v52, v32
	ds_write2_b32 v6, v8, v7 offset0:2 offset1:3
	ds_write2_b32 v6, v10, v9 offset0:4 offset1:5
	;; [unrolled: 1-line block ×7, first 2 shown]
	v_add_u32_e32 v6, 64, v6
	s_andn2_b64 exec, exec, s[20:21]
	s_cbranch_execnz .LBB2_3
; %bb.4:
	s_or_b64 exec, exec, s[20:21]
.LBB2_5:
	s_or_b64 exec, exec, s[18:19]
	v_and_b32_e32 v3, 7, v1
	v_cmp_ne_u32_e32 vcc, 0, v3
	s_and_saveexec_b64 s[18:19], vcc
	s_cbranch_execz .LBB2_8
; %bb.6:
	v_add_u32_e32 v2, v0, v2
	v_lshlrev_b32_e32 v1, 2, v2
	v_lshlrev_b32_e32 v4, 2, v3
	s_mov_b64 s[20:21], 0
	v_mov_b32_e32 v3, 0
.LBB2_7:                                ; =>This Inner Loop Header: Depth=1
	v_add_u32_e32 v8, s14, v2
	v_ashrrev_i32_e32 v9, 31, v8
	v_lshl_add_u64 v[6:7], v[2:3], 2, s[12:13]
	v_lshl_add_u64 v[8:9], v[8:9], 2, s[10:11]
	global_load_dwordx2 v[6:7], v[6:7], off
	v_add_u32_e32 v4, -4, v4
	global_load_dwordx2 v[8:9], v[8:9], off
	v_cmp_eq_u32_e32 vcc, 0, v4
	v_add_u32_e32 v2, 2, v2
	s_or_b64 s[20:21], vcc, s[20:21]
	s_waitcnt vmcnt(0)
	v_add_u32_e32 v5, v9, v7
	v_add_u32_e32 v6, v8, v6
	ds_write2_b32 v1, v6, v5 offset1:1
	v_add_u32_e32 v1, 8, v1
	s_andn2_b64 exec, exec, s[20:21]
	s_cbranch_execnz .LBB2_7
.LBB2_8:
	s_or_b64 exec, exec, s[18:19]
	v_sub_u32_e32 v2, 0x400, v0
	v_and_b32_e32 v3, 0x7fe, v2
	v_cmp_ne_u32_e32 vcc, v2, v3
	v_add_u32_e32 v1, v0, v3
	s_orn2_b64 s[18:19], vcc, exec
.LBB2_9:
	s_or_b64 exec, exec, s[16:17]
	s_and_saveexec_b64 s[16:17], s[18:19]
	s_cbranch_execz .LBB2_12
; %bb.10:
	s_ashr_i32 s15, s14, 31
	s_lshl_b32 s18, s22, 2
	s_lshl_b64 s[14:15], s[14:15], 2
	v_lshlrev_b32_e32 v2, 2, v1
	v_mov_b32_e32 v3, 0
	s_add_u32 s10, s10, s14
	s_mov_b32 s19, 0
	s_addc_u32 s11, s11, s15
	s_mov_b64 s[14:15], 0
	s_movk_i32 s20, 0x3ff
	v_mov_b64_e32 v[4:5], v[2:3]
.LBB2_11:                               ; =>This Inner Loop Header: Depth=1
	v_lshl_add_u64 v[6:7], s[12:13], 0, v[4:5]
	v_lshl_add_u64 v[8:9], s[10:11], 0, v[4:5]
	global_load_dword v3, v[6:7], off
	global_load_dword v10, v[8:9], off
	v_add_u32_e32 v1, s22, v1
	v_cmp_lt_u32_e32 vcc, s20, v1
	v_lshl_add_u64 v[4:5], v[4:5], 0, s[18:19]
	s_or_b64 s[14:15], vcc, s[14:15]
	s_waitcnt vmcnt(0)
	v_add_u32_e32 v3, v10, v3
	ds_write_b32 v2, v3
	v_add_u32_e32 v2, s18, v2
	s_andn2_b64 exec, exec, s[14:15]
	s_cbranch_execnz .LBB2_11
.LBB2_12:
	s_or_b64 exec, exec, s[16:17]
	s_load_dword s12, s[0:1], 0x28
	s_mul_i32 s2, s2, s22
	v_add_u32_e32 v2, s2, v0
	s_waitcnt lgkmcnt(0)
	s_barrier
	v_cmp_gt_i32_e32 vcc, s12, v2
	s_and_saveexec_b64 s[0:1], vcc
	s_cbranch_execz .LBB2_15
; %bb.13:
	s_mul_i32 s0, s3, s22
	v_lshlrev_b32_e32 v0, 7, v0
	v_ashrrev_i32_e32 v3, 31, v2
	s_ashr_i32 s1, s0, 31
	v_and_b32_e32 v6, 0x1f000, v0
	v_lshlrev_b64 v[0:1], 2, v[2:3]
	s_lshl_b64 s[2:3], s[0:1], 2
	s_mov_b64 s[10:11], 0
	v_mov_b32_e32 v5, 0
.LBB2_14:                               ; =>This Inner Loop Header: Depth=1
	v_lshl_add_u64 v[8:9], s[6:7], 0, v[0:1]
	global_load_dword v3, v[8:9], off
	v_lshl_add_u64 v[8:9], s[4:5], 0, v[0:1]
	global_load_dword v7, v[8:9], off
	v_add_u32_e32 v2, s0, v2
	v_cmp_le_i32_e32 vcc, s12, v2
	v_lshl_add_u64 v[0:1], v[0:1], 0, s[2:3]
	s_or_b64 s[10:11], vcc, s[10:11]
	s_waitcnt vmcnt(1)
	v_and_b32_e32 v4, 0x3ff, v3
	v_lshl_add_u32 v4, v4, 2, v6
	ds_read_b32 v4, v4
	v_ashrrev_i32_e32 v3, 10, v3
	s_waitcnt lgkmcnt(0)
	v_add_u32_e32 v4, v4, v3
	v_lshl_add_u64 v[8:9], v[4:5], 2, s[8:9]
	s_waitcnt vmcnt(0)
	global_store_dword v[8:9], v7, off
	s_andn2_b64 exec, exec, s[10:11]
	s_cbranch_execnz .LBB2_14
.LBB2_15:
	s_endpgm
	.section	.rodata,"a",@progbits
	.p2align	6, 0x0
	.amdhsa_kernel _Z10bucketsortPKfPKiPfPKjS5_i
		.amdhsa_group_segment_fixed_size 4096
		.amdhsa_private_segment_fixed_size 0
		.amdhsa_kernarg_size 304
		.amdhsa_user_sgpr_count 2
		.amdhsa_user_sgpr_dispatch_ptr 0
		.amdhsa_user_sgpr_queue_ptr 0
		.amdhsa_user_sgpr_kernarg_segment_ptr 1
		.amdhsa_user_sgpr_dispatch_id 0
		.amdhsa_user_sgpr_kernarg_preload_length 0
		.amdhsa_user_sgpr_kernarg_preload_offset 0
		.amdhsa_user_sgpr_private_segment_size 0
		.amdhsa_uses_dynamic_stack 0
		.amdhsa_enable_private_segment 0
		.amdhsa_system_sgpr_workgroup_id_x 1
		.amdhsa_system_sgpr_workgroup_id_y 0
		.amdhsa_system_sgpr_workgroup_id_z 0
		.amdhsa_system_sgpr_workgroup_info 0
		.amdhsa_system_vgpr_workitem_id 0
		.amdhsa_next_free_vgpr 54
		.amdhsa_next_free_sgpr 23
		.amdhsa_accum_offset 56
		.amdhsa_reserve_vcc 1
		.amdhsa_float_round_mode_32 0
		.amdhsa_float_round_mode_16_64 0
		.amdhsa_float_denorm_mode_32 3
		.amdhsa_float_denorm_mode_16_64 3
		.amdhsa_dx10_clamp 1
		.amdhsa_ieee_mode 1
		.amdhsa_fp16_overflow 0
		.amdhsa_tg_split 0
		.amdhsa_exception_fp_ieee_invalid_op 0
		.amdhsa_exception_fp_denorm_src 0
		.amdhsa_exception_fp_ieee_div_zero 0
		.amdhsa_exception_fp_ieee_overflow 0
		.amdhsa_exception_fp_ieee_underflow 0
		.amdhsa_exception_fp_ieee_inexact 0
		.amdhsa_exception_int_div_zero 0
	.end_amdhsa_kernel
	.text
.Lfunc_end2:
	.size	_Z10bucketsortPKfPKiPfPKjS5_i, .Lfunc_end2-_Z10bucketsortPKfPKiPfPKjS5_i
                                        ; -- End function
	.set _Z10bucketsortPKfPKiPfPKjS5_i.num_vgpr, 54
	.set _Z10bucketsortPKfPKiPfPKjS5_i.num_agpr, 0
	.set _Z10bucketsortPKfPKiPfPKjS5_i.numbered_sgpr, 23
	.set _Z10bucketsortPKfPKiPfPKjS5_i.num_named_barrier, 0
	.set _Z10bucketsortPKfPKiPfPKjS5_i.private_seg_size, 0
	.set _Z10bucketsortPKfPKiPfPKjS5_i.uses_vcc, 1
	.set _Z10bucketsortPKfPKiPfPKjS5_i.uses_flat_scratch, 0
	.set _Z10bucketsortPKfPKiPfPKjS5_i.has_dyn_sized_stack, 0
	.set _Z10bucketsortPKfPKiPfPKjS5_i.has_recursion, 0
	.set _Z10bucketsortPKfPKiPfPKjS5_i.has_indirect_call, 0
	.section	.AMDGPU.csdata,"",@progbits
; Kernel info:
; codeLenInByte = 1216
; TotalNumSgprs: 29
; NumVgprs: 54
; NumAgprs: 0
; TotalNumVgprs: 54
; ScratchSize: 0
; MemoryBound: 0
; FloatMode: 240
; IeeeMode: 1
; LDSByteSize: 4096 bytes/workgroup (compile time only)
; SGPRBlocks: 3
; VGPRBlocks: 6
; NumSGPRsForWavesPerEU: 29
; NumVGPRsForWavesPerEU: 54
; AccumOffset: 56
; Occupancy: 8
; WaveLimiterHint : 1
; COMPUTE_PGM_RSRC2:SCRATCH_EN: 0
; COMPUTE_PGM_RSRC2:USER_SGPR: 2
; COMPUTE_PGM_RSRC2:TRAP_HANDLER: 0
; COMPUTE_PGM_RSRC2:TGID_X_EN: 1
; COMPUTE_PGM_RSRC2:TGID_Y_EN: 0
; COMPUTE_PGM_RSRC2:TGID_Z_EN: 0
; COMPUTE_PGM_RSRC2:TIDIG_COMP_CNT: 0
; COMPUTE_PGM_RSRC3_GFX90A:ACCUM_OFFSET: 13
; COMPUTE_PGM_RSRC3_GFX90A:TG_SPLIT: 0
	.text
	.protected	_Z13histogram1024PjPKfiff ; -- Begin function _Z13histogram1024PjPKfiff
	.globl	_Z13histogram1024PjPKfiff
	.p2align	8
	.type	_Z13histogram1024PjPKfiff,@function
_Z13histogram1024PjPKfiff:              ; @_Z13histogram1024PjPKfiff
; %bb.0:
	s_load_dword s4, s[0:1], 0x2c
	s_load_dword s3, s[0:1], 0x20
	s_mov_b64 s[6:7], -1
	v_lshlrev_b32_e32 v2, 2, v0
	v_mov_b32_e32 v1, v0
	s_waitcnt lgkmcnt(0)
	s_and_b32 s12, s4, 0xffff
	s_cmp_lg_u32 s12, 1
	s_cbranch_scc1 .LBB3_7
; %bb.1:
	v_sub_u32_e32 v1, 0xbfe, v0
	v_lshrrev_b32_e32 v1, 1, v1
	v_add_u32_e32 v3, 1, v1
	v_and_b32_e32 v4, 0xff8, v3
	v_lshlrev_b32_e32 v1, 2, v0
	s_mov_b64 s[4:5], 0
	v_mov_b32_e32 v5, 0
.LBB3_2:                                ; =>This Inner Loop Header: Depth=1
	v_add_u32_e32 v4, -8, v4
	v_cmp_eq_u32_e32 vcc, 0, v4
	ds_write2_b32 v1, v5, v5 offset1:1
	ds_write2_b32 v1, v5, v5 offset0:2 offset1:3
	ds_write2_b32 v1, v5, v5 offset0:4 offset1:5
	ds_write2_b32 v1, v5, v5 offset0:6 offset1:7
	ds_write2_b32 v1, v5, v5 offset0:8 offset1:9
	ds_write2_b32 v1, v5, v5 offset0:10 offset1:11
	ds_write2_b32 v1, v5, v5 offset0:12 offset1:13
	ds_write2_b32 v1, v5, v5 offset0:14 offset1:15
	s_or_b64 s[4:5], vcc, s[4:5]
	v_add_u32_e32 v1, 64, v1
	s_andn2_b64 exec, exec, s[4:5]
	s_cbranch_execnz .LBB3_2
; %bb.3:
	s_or_b64 exec, exec, s[4:5]
	v_and_b32_e32 v3, 7, v3
	v_cmp_ne_u32_e32 vcc, 0, v3
	s_and_saveexec_b64 s[4:5], vcc
	s_cbranch_execz .LBB3_6
; %bb.4:
	v_sub_u32_e32 v3, 0, v3
	s_mov_b64 s[6:7], 0
	v_mov_b32_e32 v4, 0
.LBB3_5:                                ; =>This Inner Loop Header: Depth=1
	v_add_co_u32_e32 v3, vcc, 1, v3
	ds_write2_b32 v1, v4, v4 offset1:1
	s_or_b64 s[6:7], vcc, s[6:7]
	v_add_u32_e32 v1, 8, v1
	s_andn2_b64 exec, exec, s[6:7]
	s_cbranch_execnz .LBB3_5
.LBB3_6:
	s_or_b64 exec, exec, s[4:5]
	v_sub_u32_e32 v3, 0xc00, v0
	v_and_b32_e32 v4, 0xffe, v3
	v_add_u32_e32 v1, v0, v4
	v_cmp_ne_u32_e64 s[6:7], v3, v4
.LBB3_7:
	s_and_saveexec_b64 s[4:5], s[6:7]
	s_cbranch_execz .LBB3_10
; %bb.8:
	v_lshlrev_b32_e32 v3, 2, v1
	s_lshl_b32 s8, s12, 2
	s_mov_b64 s[6:7], 0
	v_mov_b32_e32 v4, 0
	s_movk_i32 s9, 0xbff
.LBB3_9:                                ; =>This Inner Loop Header: Depth=1
	v_add_u32_e32 v1, s12, v1
	v_cmp_lt_u32_e32 vcc, s9, v1
	ds_write_b32 v3, v4
	s_or_b64 s[6:7], vcc, s[6:7]
	v_add_u32_e32 v3, s8, v3
	s_andn2_b64 exec, exec, s[6:7]
	s_cbranch_execnz .LBB3_9
.LBB3_10:
	s_or_b64 exec, exec, s[4:5]
	s_load_dwordx8 s[4:11], s[0:1], 0x0
	s_mul_i32 s2, s2, s12
	v_add_u32_e32 v4, s2, v0
	s_waitcnt lgkmcnt(0)
	s_barrier
	v_cmp_gt_i32_e32 vcc, s8, v4
	s_and_saveexec_b64 s[0:1], vcc
	s_cbranch_execz .LBB3_13
; %bb.11:
	s_mul_i32 s2, s3, s12
	v_mov_b32_e32 v6, s6
	v_mov_b32_e32 v7, s7
	;; [unrolled: 1-line block ×3, first 2 shown]
	v_lshlrev_b32_e32 v3, 7, v0
	v_ashrrev_i32_e32 v5, 31, v4
	s_ashr_i32 s3, s2, 31
	v_sub_f32_e32 v1, s10, v1
	v_and_b32_e32 v3, 0x1f000, v3
	v_lshl_add_u64 v[6:7], v[4:5], 2, v[6:7]
	s_lshl_b64 s[6:7], s[2:3], 2
	s_mov_b64 s[10:11], 0
	v_mov_b32_e32 v5, 1
.LBB3_12:                               ; =>This Inner Loop Header: Depth=1
	global_load_dword v8, v[6:7], off
	v_add_u32_e32 v4, s2, v4
	v_lshl_add_u64 v[6:7], v[6:7], 0, s[6:7]
	s_waitcnt vmcnt(0)
	v_subrev_f32_e32 v8, s9, v8
	v_div_scale_f32 v9, s[14:15], v1, v1, v8
	v_rcp_f32_e32 v10, v9
	v_div_scale_f32 v11, vcc, v8, v1, v8
	v_fma_f32 v12, -v9, v10, 1.0
	v_fmac_f32_e32 v10, v12, v10
	v_mul_f32_e32 v12, v11, v10
	v_fma_f32 v13, -v9, v12, v11
	v_fmac_f32_e32 v12, v13, v10
	v_fma_f32 v9, -v9, v12, v11
	v_div_fmas_f32 v9, v9, v10, v12
	v_div_fixup_f32 v8, v9, v1, v8
	v_mul_f32_e32 v8, 0x44800000, v8
	v_cvt_u32_f32_e32 v8, v8
	v_cmp_le_i32_e32 vcc, s8, v4
	s_or_b64 s[10:11], vcc, s[10:11]
	v_and_b32_e32 v8, 0x3ff, v8
	v_lshl_add_u32 v8, v8, 2, v3
	ds_add_u32 v8, v5
	s_andn2_b64 exec, exec, s[10:11]
	s_cbranch_execnz .LBB3_12
.LBB3_13:
	s_or_b64 exec, exec, s[0:1]
	v_mov_b32_e32 v3, 0
	s_mov_b32 s1, 0
	v_lshl_add_u64 v[4:5], s[4:5], 0, v[2:3]
	s_lshl_b32 s0, s12, 2
	s_mov_b64 s[2:3], 0
	s_movk_i32 s4, 0x3ff
	s_waitcnt lgkmcnt(0)
	s_barrier
.LBB3_14:                               ; =>This Inner Loop Header: Depth=1
	ds_read2st64_b32 v[6:7], v2 offset1:16
	ds_read_b32 v1, v2 offset:8192
	v_add_u32_e32 v0, s12, v0
	v_cmp_lt_u32_e32 vcc, s4, v0
	v_add_u32_e32 v2, s0, v2
	s_waitcnt lgkmcnt(1)
	v_and_b32_e32 v3, 0x7ffffff, v6
	v_and_b32_e32 v6, 0x7ffffff, v7
	s_waitcnt lgkmcnt(0)
	v_and_b32_e32 v1, 0x7ffffff, v1
	v_add3_u32 v1, v6, v3, v1
	global_atomic_add v[4:5], v1, off
	s_or_b64 s[2:3], vcc, s[2:3]
	v_lshl_add_u64 v[4:5], v[4:5], 0, s[0:1]
	s_andn2_b64 exec, exec, s[2:3]
	s_cbranch_execnz .LBB3_14
; %bb.15:
	s_endpgm
	.section	.rodata,"a",@progbits
	.p2align	6, 0x0
	.amdhsa_kernel _Z13histogram1024PjPKfiff
		.amdhsa_group_segment_fixed_size 12288
		.amdhsa_private_segment_fixed_size 0
		.amdhsa_kernarg_size 288
		.amdhsa_user_sgpr_count 2
		.amdhsa_user_sgpr_dispatch_ptr 0
		.amdhsa_user_sgpr_queue_ptr 0
		.amdhsa_user_sgpr_kernarg_segment_ptr 1
		.amdhsa_user_sgpr_dispatch_id 0
		.amdhsa_user_sgpr_kernarg_preload_length 0
		.amdhsa_user_sgpr_kernarg_preload_offset 0
		.amdhsa_user_sgpr_private_segment_size 0
		.amdhsa_uses_dynamic_stack 0
		.amdhsa_enable_private_segment 0
		.amdhsa_system_sgpr_workgroup_id_x 1
		.amdhsa_system_sgpr_workgroup_id_y 0
		.amdhsa_system_sgpr_workgroup_id_z 0
		.amdhsa_system_sgpr_workgroup_info 0
		.amdhsa_system_vgpr_workitem_id 0
		.amdhsa_next_free_vgpr 14
		.amdhsa_next_free_sgpr 16
		.amdhsa_accum_offset 16
		.amdhsa_reserve_vcc 1
		.amdhsa_float_round_mode_32 0
		.amdhsa_float_round_mode_16_64 0
		.amdhsa_float_denorm_mode_32 3
		.amdhsa_float_denorm_mode_16_64 3
		.amdhsa_dx10_clamp 1
		.amdhsa_ieee_mode 1
		.amdhsa_fp16_overflow 0
		.amdhsa_tg_split 0
		.amdhsa_exception_fp_ieee_invalid_op 0
		.amdhsa_exception_fp_denorm_src 0
		.amdhsa_exception_fp_ieee_div_zero 0
		.amdhsa_exception_fp_ieee_overflow 0
		.amdhsa_exception_fp_ieee_underflow 0
		.amdhsa_exception_fp_ieee_inexact 0
		.amdhsa_exception_int_div_zero 0
	.end_amdhsa_kernel
	.text
.Lfunc_end3:
	.size	_Z13histogram1024PjPKfiff, .Lfunc_end3-_Z13histogram1024PjPKfiff
                                        ; -- End function
	.set _Z13histogram1024PjPKfiff.num_vgpr, 14
	.set _Z13histogram1024PjPKfiff.num_agpr, 0
	.set _Z13histogram1024PjPKfiff.numbered_sgpr, 16
	.set _Z13histogram1024PjPKfiff.num_named_barrier, 0
	.set _Z13histogram1024PjPKfiff.private_seg_size, 0
	.set _Z13histogram1024PjPKfiff.uses_vcc, 1
	.set _Z13histogram1024PjPKfiff.uses_flat_scratch, 0
	.set _Z13histogram1024PjPKfiff.has_dyn_sized_stack, 0
	.set _Z13histogram1024PjPKfiff.has_recursion, 0
	.set _Z13histogram1024PjPKfiff.has_indirect_call, 0
	.section	.AMDGPU.csdata,"",@progbits
; Kernel info:
; codeLenInByte = 716
; TotalNumSgprs: 22
; NumVgprs: 14
; NumAgprs: 0
; TotalNumVgprs: 14
; ScratchSize: 0
; MemoryBound: 0
; FloatMode: 240
; IeeeMode: 1
; LDSByteSize: 12288 bytes/workgroup (compile time only)
; SGPRBlocks: 2
; VGPRBlocks: 1
; NumSGPRsForWavesPerEU: 22
; NumVGPRsForWavesPerEU: 14
; AccumOffset: 16
; Occupancy: 8
; WaveLimiterHint : 0
; COMPUTE_PGM_RSRC2:SCRATCH_EN: 0
; COMPUTE_PGM_RSRC2:USER_SGPR: 2
; COMPUTE_PGM_RSRC2:TRAP_HANDLER: 0
; COMPUTE_PGM_RSRC2:TGID_X_EN: 1
; COMPUTE_PGM_RSRC2:TGID_Y_EN: 0
; COMPUTE_PGM_RSRC2:TGID_Z_EN: 0
; COMPUTE_PGM_RSRC2:TIDIG_COMP_CNT: 0
; COMPUTE_PGM_RSRC3_GFX90A:ACCUM_OFFSET: 3
; COMPUTE_PGM_RSRC3_GFX90A:TG_SPLIT: 0
	.text
	.p2alignl 6, 3212836864
	.fill 256, 4, 3212836864
	.section	.AMDGPU.gpr_maximums,"",@progbits
	.set amdgpu.max_num_vgpr, 0
	.set amdgpu.max_num_agpr, 0
	.set amdgpu.max_num_sgpr, 0
	.text
	.type	__hip_cuid_f3925e8609c116a2,@object ; @__hip_cuid_f3925e8609c116a2
	.section	.bss,"aw",@nobits
	.globl	__hip_cuid_f3925e8609c116a2
__hip_cuid_f3925e8609c116a2:
	.byte	0                               ; 0x0
	.size	__hip_cuid_f3925e8609c116a2, 1

	.ident	"AMD clang version 22.0.0git (https://github.com/RadeonOpenCompute/llvm-project roc-7.2.4 26084 f58b06dce1f9c15707c5f808fd002e18c2accf7e)"
	.section	".note.GNU-stack","",@progbits
	.addrsig
	.addrsig_sym __hip_cuid_f3925e8609c116a2
	.amdgpu_metadata
---
amdhsa.kernels:
  - .agpr_count:     0
    .args:
      - .address_space:  global
        .offset:         0
        .size:           8
        .value_kind:     global_buffer
      - .address_space:  global
        .offset:         8
        .size:           8
        .value_kind:     global_buffer
      - .address_space:  global
        .offset:         16
        .size:           8
        .value_kind:     global_buffer
      - .address_space:  global
        .offset:         24
        .size:           8
        .value_kind:     global_buffer
      - .offset:         32
        .size:           4
        .value_kind:     by_value
      - .offset:         40
        .size:           4
        .value_kind:     hidden_block_count_x
      - .offset:         44
        .size:           4
        .value_kind:     hidden_block_count_y
      - .offset:         48
        .size:           4
        .value_kind:     hidden_block_count_z
      - .offset:         52
        .size:           2
        .value_kind:     hidden_group_size_x
      - .offset:         54
        .size:           2
        .value_kind:     hidden_group_size_y
      - .offset:         56
        .size:           2
        .value_kind:     hidden_group_size_z
      - .offset:         58
        .size:           2
        .value_kind:     hidden_remainder_x
      - .offset:         60
        .size:           2
        .value_kind:     hidden_remainder_y
      - .offset:         62
        .size:           2
        .value_kind:     hidden_remainder_z
      - .offset:         80
        .size:           8
        .value_kind:     hidden_global_offset_x
      - .offset:         88
        .size:           8
        .value_kind:     hidden_global_offset_y
      - .offset:         96
        .size:           8
        .value_kind:     hidden_global_offset_z
      - .offset:         104
        .size:           2
        .value_kind:     hidden_grid_dims
    .group_segment_fixed_size: 4096
    .kernarg_segment_align: 8
    .kernarg_segment_size: 296
    .language:       OpenCL C
    .language_version:
      - 2
      - 0
    .max_flat_workgroup_size: 1024
    .name:           _Z11bucketcountPKfPiPjS0_i
    .private_segment_fixed_size: 0
    .sgpr_count:     28
    .sgpr_spill_count: 0
    .symbol:         _Z11bucketcountPKfPiPjS0_i.kd
    .uniform_work_group_size: 1
    .uses_dynamic_stack: false
    .vgpr_count:     40
    .vgpr_spill_count: 0
    .wavefront_size: 64
  - .agpr_count:     0
    .args:
      - .address_space:  global
        .offset:         0
        .size:           8
        .value_kind:     global_buffer
      - .address_space:  global
        .offset:         8
        .size:           8
        .value_kind:     global_buffer
      - .offset:         16
        .size:           4
        .value_kind:     by_value
      - .offset:         24
        .size:           4
        .value_kind:     hidden_block_count_x
      - .offset:         28
        .size:           4
        .value_kind:     hidden_block_count_y
      - .offset:         32
        .size:           4
        .value_kind:     hidden_block_count_z
      - .offset:         36
        .size:           2
        .value_kind:     hidden_group_size_x
      - .offset:         38
        .size:           2
        .value_kind:     hidden_group_size_y
      - .offset:         40
        .size:           2
        .value_kind:     hidden_group_size_z
      - .offset:         42
        .size:           2
        .value_kind:     hidden_remainder_x
      - .offset:         44
        .size:           2
        .value_kind:     hidden_remainder_y
      - .offset:         46
        .size:           2
        .value_kind:     hidden_remainder_z
      - .offset:         64
        .size:           8
        .value_kind:     hidden_global_offset_x
      - .offset:         72
        .size:           8
        .value_kind:     hidden_global_offset_y
      - .offset:         80
        .size:           8
        .value_kind:     hidden_global_offset_z
      - .offset:         88
        .size:           2
        .value_kind:     hidden_grid_dims
    .group_segment_fixed_size: 0
    .kernarg_segment_align: 8
    .kernarg_segment_size: 280
    .language:       OpenCL C
    .language_version:
      - 2
      - 0
    .max_flat_workgroup_size: 1024
    .name:           _Z12bucketprefixPjS_i
    .private_segment_fixed_size: 0
    .sgpr_count:     15
    .sgpr_spill_count: 0
    .symbol:         _Z12bucketprefixPjS_i.kd
    .uniform_work_group_size: 1
    .uses_dynamic_stack: false
    .vgpr_count:     7
    .vgpr_spill_count: 0
    .wavefront_size: 64
  - .agpr_count:     0
    .args:
      - .address_space:  global
        .offset:         0
        .size:           8
        .value_kind:     global_buffer
      - .address_space:  global
        .offset:         8
        .size:           8
        .value_kind:     global_buffer
      - .address_space:  global
        .offset:         16
        .size:           8
        .value_kind:     global_buffer
      - .address_space:  global
        .offset:         24
        .size:           8
        .value_kind:     global_buffer
      - .address_space:  global
        .offset:         32
        .size:           8
        .value_kind:     global_buffer
      - .offset:         40
        .size:           4
        .value_kind:     by_value
      - .offset:         48
        .size:           4
        .value_kind:     hidden_block_count_x
      - .offset:         52
        .size:           4
        .value_kind:     hidden_block_count_y
      - .offset:         56
        .size:           4
        .value_kind:     hidden_block_count_z
      - .offset:         60
        .size:           2
        .value_kind:     hidden_group_size_x
      - .offset:         62
        .size:           2
        .value_kind:     hidden_group_size_y
      - .offset:         64
        .size:           2
        .value_kind:     hidden_group_size_z
      - .offset:         66
        .size:           2
        .value_kind:     hidden_remainder_x
      - .offset:         68
        .size:           2
        .value_kind:     hidden_remainder_y
      - .offset:         70
        .size:           2
        .value_kind:     hidden_remainder_z
      - .offset:         88
        .size:           8
        .value_kind:     hidden_global_offset_x
      - .offset:         96
        .size:           8
        .value_kind:     hidden_global_offset_y
      - .offset:         104
        .size:           8
        .value_kind:     hidden_global_offset_z
      - .offset:         112
        .size:           2
        .value_kind:     hidden_grid_dims
    .group_segment_fixed_size: 4096
    .kernarg_segment_align: 8
    .kernarg_segment_size: 304
    .language:       OpenCL C
    .language_version:
      - 2
      - 0
    .max_flat_workgroup_size: 1024
    .name:           _Z10bucketsortPKfPKiPfPKjS5_i
    .private_segment_fixed_size: 0
    .sgpr_count:     29
    .sgpr_spill_count: 0
    .symbol:         _Z10bucketsortPKfPKiPfPKjS5_i.kd
    .uniform_work_group_size: 1
    .uses_dynamic_stack: false
    .vgpr_count:     54
    .vgpr_spill_count: 0
    .wavefront_size: 64
  - .agpr_count:     0
    .args:
      - .address_space:  global
        .offset:         0
        .size:           8
        .value_kind:     global_buffer
      - .address_space:  global
        .offset:         8
        .size:           8
        .value_kind:     global_buffer
      - .offset:         16
        .size:           4
        .value_kind:     by_value
      - .offset:         20
        .size:           4
        .value_kind:     by_value
      - .offset:         24
        .size:           4
        .value_kind:     by_value
      - .offset:         32
        .size:           4
        .value_kind:     hidden_block_count_x
      - .offset:         36
        .size:           4
        .value_kind:     hidden_block_count_y
      - .offset:         40
        .size:           4
        .value_kind:     hidden_block_count_z
      - .offset:         44
        .size:           2
        .value_kind:     hidden_group_size_x
      - .offset:         46
        .size:           2
        .value_kind:     hidden_group_size_y
      - .offset:         48
        .size:           2
        .value_kind:     hidden_group_size_z
      - .offset:         50
        .size:           2
        .value_kind:     hidden_remainder_x
      - .offset:         52
        .size:           2
        .value_kind:     hidden_remainder_y
      - .offset:         54
        .size:           2
        .value_kind:     hidden_remainder_z
      - .offset:         72
        .size:           8
        .value_kind:     hidden_global_offset_x
      - .offset:         80
        .size:           8
        .value_kind:     hidden_global_offset_y
      - .offset:         88
        .size:           8
        .value_kind:     hidden_global_offset_z
      - .offset:         96
        .size:           2
        .value_kind:     hidden_grid_dims
    .group_segment_fixed_size: 12288
    .kernarg_segment_align: 8
    .kernarg_segment_size: 288
    .language:       OpenCL C
    .language_version:
      - 2
      - 0
    .max_flat_workgroup_size: 1024
    .name:           _Z13histogram1024PjPKfiff
    .private_segment_fixed_size: 0
    .sgpr_count:     22
    .sgpr_spill_count: 0
    .symbol:         _Z13histogram1024PjPKfiff.kd
    .uniform_work_group_size: 1
    .uses_dynamic_stack: false
    .vgpr_count:     14
    .vgpr_spill_count: 0
    .wavefront_size: 64
amdhsa.target:   amdgcn-amd-amdhsa--gfx950
amdhsa.version:
  - 1
  - 2
...

	.end_amdgpu_metadata
